;; amdgpu-corpus repo=zjin-lcf/HeCBench kind=compiled arch=gfx906 opt=O3
	.amdgcn_target "amdgcn-amd-amdhsa--gfx906"
	.amdhsa_code_object_version 6
	.text
	.protected	_Z15winograd_conv2dPKfS0_Pfii ; -- Begin function _Z15winograd_conv2dPKfS0_Pfii
	.globl	_Z15winograd_conv2dPKfS0_Pfii
	.p2align	8
	.type	_Z15winograd_conv2dPKfS0_Pfii,@function
_Z15winograd_conv2dPKfS0_Pfii:          ; @_Z15winograd_conv2dPKfS0_Pfii
; %bb.0:
	s_load_dword s2, s[4:5], 0x2c
	s_load_dwordx2 s[0:1], s[4:5], 0x18
	s_load_dwordx2 s[8:9], s[4:5], 0x0
	v_mov_b32_e32 v8, 0
	v_mov_b32_e32 v3, 0
	s_waitcnt lgkmcnt(0)
	s_lshr_b32 s3, s2, 16
	s_and_b32 s2, s2, 0xffff
	s_mul_i32 s2, s6, s2
	s_add_i32 s2, s2, s0
	s_mul_i32 s0, s7, s3
	s_add_i32 s0, s0, s1
	v_add_u32_e32 v2, s2, v0
	v_add_u32_e32 v4, s0, v1
	s_movk_i32 s0, 0x1ff
	v_cmp_lt_i32_e64 s[2:3], s0, v2
	v_cmp_lt_i32_e32 vcc, s0, v4
	v_lshlrev_b32_e32 v0, 1, v4
	v_lshlrev_b32_e32 v12, 11, v2
	s_nor_b64 s[6:7], s[2:3], vcc
	s_and_saveexec_b64 s[10:11], s[6:7]
	s_cbranch_execz .LBB0_2
; %bb.1:
	v_add_u32_e32 v5, v0, v12
	v_ashrrev_i32_e32 v6, 31, v5
	v_lshlrev_b64 v[5:6], 2, v[5:6]
	v_mov_b32_e32 v1, s9
	v_add_co_u32_e64 v5, s[0:1], s8, v5
	v_addc_co_u32_e64 v6, s[0:1], v1, v6, s[0:1]
	global_load_dword v3, v[5:6], off
.LBB0_2:
	s_or_b64 exec, exec, s[10:11]
	v_ashrrev_i32_e32 v5, 31, v12
	v_ashrrev_i32_e32 v1, 31, v0
	s_and_saveexec_b64 s[10:11], s[6:7]
	s_cbranch_execz .LBB0_4
; %bb.3:
	v_add_co_u32_e64 v6, s[0:1], v0, v12
	v_addc_co_u32_e64 v7, s[0:1], v1, v5, s[0:1]
	v_lshlrev_b64 v[6:7], 2, v[6:7]
	v_mov_b32_e32 v8, s9
	v_add_co_u32_e64 v6, s[0:1], s8, v6
	v_addc_co_u32_e64 v7, s[0:1], v8, v7, s[0:1]
	global_load_dword v8, v[6:7], off offset:4
.LBB0_4:
	s_or_b64 exec, exec, s[10:11]
	s_movk_i32 s0, 0x1fe
	v_cmp_lt_i32_e64 s[0:1], s0, v4
	s_nor_b64 s[10:11], s[2:3], s[0:1]
	v_mov_b32_e32 v4, 0
	v_mov_b32_e32 v11, 0
	s_and_saveexec_b64 s[12:13], s[10:11]
	s_cbranch_execz .LBB0_6
; %bb.5:
	v_add_co_u32_e64 v6, s[2:3], v0, v12
	v_addc_co_u32_e64 v7, s[2:3], v1, v5, s[2:3]
	v_lshlrev_b64 v[6:7], 2, v[6:7]
	v_mov_b32_e32 v9, s9
	v_add_co_u32_e64 v6, s[2:3], s8, v6
	v_addc_co_u32_e64 v7, s[2:3], v9, v7, s[2:3]
	global_load_dword v11, v[6:7], off offset:8
.LBB0_6:
	s_or_b64 exec, exec, s[12:13]
	s_and_saveexec_b64 s[12:13], s[10:11]
	s_cbranch_execz .LBB0_8
; %bb.7:
	v_add_co_u32_e64 v4, s[2:3], v0, v12
	v_addc_co_u32_e64 v5, s[2:3], v1, v5, s[2:3]
	v_lshlrev_b64 v[4:5], 2, v[4:5]
	v_mov_b32_e32 v6, s9
	v_add_co_u32_e64 v4, s[2:3], s8, v4
	v_addc_co_u32_e64 v5, s[2:3], v6, v5, s[2:3]
	global_load_dword v4, v[4:5], off offset:12
.LBB0_8:
	s_or_b64 exec, exec, s[12:13]
	v_lshl_or_b32 v5, v2, 1, 1
	v_lshlrev_b32_e32 v13, 10, v5
	v_mov_b32_e32 v7, 0
	v_mov_b32_e32 v6, 0
	s_and_saveexec_b64 s[12:13], s[6:7]
	s_cbranch_execz .LBB0_10
; %bb.9:
	v_add_u32_e32 v9, v0, v13
	v_ashrrev_i32_e32 v10, 31, v9
	v_lshlrev_b64 v[9:10], 2, v[9:10]
	v_mov_b32_e32 v6, s9
	v_add_co_u32_e64 v9, s[2:3], s8, v9
	v_addc_co_u32_e64 v10, s[2:3], v6, v10, s[2:3]
	global_load_dword v6, v[9:10], off
.LBB0_10:
	s_or_b64 exec, exec, s[12:13]
	v_ashrrev_i32_e32 v14, 31, v13
	s_and_saveexec_b64 s[12:13], s[6:7]
	s_cbranch_execz .LBB0_12
; %bb.11:
	v_add_co_u32_e64 v9, s[2:3], v0, v13
	v_addc_co_u32_e64 v10, s[2:3], v1, v14, s[2:3]
	v_lshlrev_b64 v[9:10], 2, v[9:10]
	v_mov_b32_e32 v7, s9
	v_add_co_u32_e64 v9, s[2:3], s8, v9
	v_addc_co_u32_e64 v10, s[2:3], v7, v10, s[2:3]
	global_load_dword v7, v[9:10], off offset:4
.LBB0_12:
	s_or_b64 exec, exec, s[12:13]
	v_mov_b32_e32 v9, 0
	v_mov_b32_e32 v10, 0
	s_and_saveexec_b64 s[6:7], s[10:11]
	s_cbranch_execz .LBB0_14
; %bb.13:
	v_add_co_u32_e64 v15, s[2:3], v0, v13
	v_addc_co_u32_e64 v16, s[2:3], v1, v14, s[2:3]
	v_lshlrev_b64 v[15:16], 2, v[15:16]
	v_mov_b32_e32 v10, s9
	v_add_co_u32_e64 v15, s[2:3], s8, v15
	v_addc_co_u32_e64 v16, s[2:3], v10, v16, s[2:3]
	global_load_dword v10, v[15:16], off offset:8
.LBB0_14:
	s_or_b64 exec, exec, s[6:7]
	s_and_saveexec_b64 s[6:7], s[10:11]
	s_cbranch_execz .LBB0_16
; %bb.15:
	v_add_co_u32_e64 v13, s[2:3], v0, v13
	v_addc_co_u32_e64 v14, s[2:3], v1, v14, s[2:3]
	v_lshlrev_b64 v[13:14], 2, v[13:14]
	v_mov_b32_e32 v9, s9
	v_add_co_u32_e64 v13, s[2:3], s8, v13
	v_addc_co_u32_e64 v14, s[2:3], v9, v14, s[2:3]
	global_load_dword v9, v[13:14], off offset:12
.LBB0_16:
	s_or_b64 exec, exec, s[6:7]
	s_movk_i32 s2, 0x1fe
	v_cmp_lt_i32_e64 s[2:3], s2, v2
	v_add_u32_e32 v15, 0x800, v12
	s_nor_b64 s[6:7], s[2:3], vcc
	v_mov_b32_e32 v16, 0
	v_mov_b32_e32 v13, 0
	s_and_saveexec_b64 s[10:11], s[6:7]
	s_cbranch_execz .LBB0_18
; %bb.17:
	v_add_u32_e32 v13, v0, v15
	v_ashrrev_i32_e32 v14, 31, v13
	v_lshlrev_b64 v[13:14], 2, v[13:14]
	v_mov_b32_e32 v17, s9
	v_add_co_u32_e32 v13, vcc, s8, v13
	v_addc_co_u32_e32 v14, vcc, v17, v14, vcc
	global_load_dword v13, v[13:14], off
.LBB0_18:
	s_or_b64 exec, exec, s[10:11]
	v_ashrrev_i32_e32 v17, 31, v15
	s_and_saveexec_b64 s[10:11], s[6:7]
	s_cbranch_execz .LBB0_20
; %bb.19:
	v_add_co_u32_e32 v18, vcc, v0, v15
	v_addc_co_u32_e32 v19, vcc, v1, v17, vcc
	v_lshlrev_b64 v[18:19], 2, v[18:19]
	v_mov_b32_e32 v14, s9
	v_add_co_u32_e32 v18, vcc, s8, v18
	v_addc_co_u32_e32 v19, vcc, v14, v19, vcc
	global_load_dword v16, v[18:19], off offset:4
.LBB0_20:
	s_or_b64 exec, exec, s[10:11]
	s_nor_b64 s[12:13], s[2:3], s[0:1]
	v_mov_b32_e32 v14, 0
	v_mov_b32_e32 v19, 0
	s_and_saveexec_b64 s[0:1], s[12:13]
	s_cbranch_execz .LBB0_22
; %bb.21:
	v_add_co_u32_e32 v18, vcc, v0, v15
	v_addc_co_u32_e32 v19, vcc, v1, v17, vcc
	v_lshlrev_b64 v[18:19], 2, v[18:19]
	v_mov_b32_e32 v20, s9
	v_add_co_u32_e32 v18, vcc, s8, v18
	v_addc_co_u32_e32 v19, vcc, v20, v19, vcc
	global_load_dword v19, v[18:19], off offset:8
.LBB0_22:
	s_or_b64 exec, exec, s[0:1]
	s_and_saveexec_b64 s[0:1], s[12:13]
	s_cbranch_execz .LBB0_24
; %bb.23:
	v_add_co_u32_e32 v14, vcc, v0, v15
	v_addc_co_u32_e32 v15, vcc, v1, v17, vcc
	v_lshlrev_b64 v[14:15], 2, v[14:15]
	v_mov_b32_e32 v17, s9
	v_add_co_u32_e32 v14, vcc, s8, v14
	v_addc_co_u32_e32 v15, vcc, v17, v15, vcc
	global_load_dword v14, v[14:15], off offset:12
.LBB0_24:
	s_or_b64 exec, exec, s[0:1]
	v_add_u32_e32 v20, 0xc00, v12
	v_mov_b32_e32 v15, 0
	v_mov_b32_e32 v12, 0
	s_and_saveexec_b64 s[0:1], s[6:7]
	s_cbranch_execz .LBB0_26
; %bb.25:
	v_add_u32_e32 v17, v0, v20
	v_ashrrev_i32_e32 v18, 31, v17
	v_lshlrev_b64 v[17:18], 2, v[17:18]
	v_mov_b32_e32 v12, s9
	v_add_co_u32_e32 v17, vcc, s8, v17
	v_addc_co_u32_e32 v18, vcc, v12, v18, vcc
	global_load_dword v12, v[17:18], off
.LBB0_26:
	s_or_b64 exec, exec, s[0:1]
	v_ashrrev_i32_e32 v21, 31, v20
	s_and_saveexec_b64 s[0:1], s[6:7]
	s_cbranch_execz .LBB0_28
; %bb.27:
	v_add_co_u32_e32 v17, vcc, v0, v20
	v_addc_co_u32_e32 v18, vcc, v1, v21, vcc
	v_lshlrev_b64 v[17:18], 2, v[17:18]
	v_mov_b32_e32 v15, s9
	v_add_co_u32_e32 v17, vcc, s8, v17
	v_addc_co_u32_e32 v18, vcc, v15, v18, vcc
	global_load_dword v15, v[17:18], off offset:4
.LBB0_28:
	s_or_b64 exec, exec, s[0:1]
	s_load_dwordx2 s[18:19], s[4:5], 0x8
	v_mov_b32_e32 v17, 0
	v_mov_b32_e32 v18, 0
	s_and_saveexec_b64 s[0:1], s[12:13]
	s_cbranch_execz .LBB0_30
; %bb.29:
	v_add_co_u32_e32 v22, vcc, v0, v20
	v_addc_co_u32_e32 v23, vcc, v1, v21, vcc
	v_lshlrev_b64 v[22:23], 2, v[22:23]
	v_mov_b32_e32 v18, s9
	v_add_co_u32_e32 v22, vcc, s8, v22
	v_addc_co_u32_e32 v23, vcc, v18, v23, vcc
	global_load_dword v18, v[22:23], off offset:8
.LBB0_30:
	s_or_b64 exec, exec, s[0:1]
	s_load_dwordx2 s[14:15], s[4:5], 0x10
	s_and_saveexec_b64 s[0:1], s[12:13]
	s_cbranch_execz .LBB0_32
; %bb.31:
	v_add_co_u32_e32 v20, vcc, v0, v20
	v_addc_co_u32_e32 v21, vcc, v1, v21, vcc
	v_lshlrev_b64 v[20:21], 2, v[20:21]
	v_mov_b32_e32 v17, s9
	v_add_co_u32_e32 v20, vcc, s8, v20
	v_addc_co_u32_e32 v21, vcc, v17, v21, vcc
	global_load_dword v17, v[20:21], off offset:12
.LBB0_32:
	s_or_b64 exec, exec, s[0:1]
	s_waitcnt lgkmcnt(0)
	s_load_dwordx8 s[0:7], s[18:19], 0x4
	s_waitcnt vmcnt(0)
	v_sub_f32_e32 v20, v8, v16
	v_add_f32_e32 v21, v16, v7
	v_add_f32_e32 v8, v19, v10
	;; [unrolled: 1-line block ×3, first 2 shown]
	v_sub_f32_e32 v28, v11, v19
	v_sub_f32_e32 v11, v19, v10
	v_add_f32_e32 v19, v21, v8
	v_sub_f32_e32 v24, v13, v6
	v_sub_f32_e32 v22, v16, v7
	v_add_f32_e32 v26, v20, v28
	v_sub_f32_e32 v16, v23, v8
	v_sub_f32_e32 v23, v8, v21
	s_waitcnt lgkmcnt(0)
	v_mul_f32_e32 v19, s4, v19
	v_sub_f32_e32 v24, v24, v11
	v_mul_f32_e32 v8, s3, v16
	v_mul_f32_e32 v16, s5, v23
	v_fma_f32 v23, s0, v26, v19
	s_movk_i32 s0, 0x7fc
	v_add_f32_e32 v25, v22, v11
	v_sub_f32_e32 v27, v11, v22
	s_load_dwordx4 s[8:11], s[18:19], 0x24
	s_load_dwordx2 s[16:17], s[18:19], 0x34
	s_load_dword s20, s[18:19], 0x3c
	v_mul_f32_e32 v11, s7, v24
	v_mul_lo_u32 v24, v2, s0
	v_sub_f32_e32 v29, v28, v20
	v_fma_f32 v26, s1, v29, v16
	s_waitcnt lgkmcnt(0)
	v_fmac_f32_e32 v23, s8, v25
	v_fmac_f32_e32 v26, s9, v27
	s_and_saveexec_b64 s[0:1], s[12:13]
	s_cbranch_execz .LBB0_34
; %bb.33:
	s_load_dword s3, s[18:19], 0x0
	v_sub_f32_e32 v3, v3, v13
	v_add_u32_e32 v2, v0, v24
	v_sub_f32_e32 v13, v3, v28
	v_ashrrev_i32_e32 v3, 31, v2
	s_waitcnt lgkmcnt(0)
	v_fma_f32 v13, s3, v13, v8
	v_lshlrev_b64 v[2:3], 2, v[2:3]
	v_add_f32_e32 v13, v13, v11
	v_add_f32_e32 v13, v13, v23
	v_mov_b32_e32 v28, s15
	v_add_co_u32_e32 v2, vcc, s14, v2
	v_add_f32_e32 v13, v13, v26
	v_addc_co_u32_e32 v3, vcc, v28, v3, vcc
	global_store_dword v[2:3], v13, off
.LBB0_34:
	s_or_b64 exec, exec, s[0:1]
	v_add_f32_e32 v2, v14, v9
	v_sub_f32_e32 v3, v14, v9
	v_sub_f32_e32 v2, v21, v2
	;; [unrolled: 1-line block ×3, first 2 shown]
	v_mul_f32_e32 v25, s8, v25
	v_mul_f32_e32 v13, s9, v27
	;; [unrolled: 1-line block ×4, first 2 shown]
	s_and_saveexec_b64 s[0:1], s[12:13]
	s_cbranch_execz .LBB0_36
; %bb.35:
	v_sub_f32_e32 v4, v4, v14
	v_sub_f32_e32 v4, v20, v4
	v_fma_f32 v4, s2, v4, v2
	v_add_f32_e32 v4, v4, v3
	v_sub_f32_e32 v14, v23, v26
	v_sub_f32_e32 v4, v14, v4
	v_ashrrev_i32_e32 v14, 31, v24
	v_add_co_u32_e32 v20, vcc, v0, v24
	v_addc_co_u32_e32 v21, vcc, v1, v14, vcc
	v_lshlrev_b64 v[20:21], 2, v[20:21]
	v_mov_b32_e32 v14, s15
	v_add_co_u32_e32 v20, vcc, s14, v20
	v_addc_co_u32_e32 v21, vcc, v14, v21, vcc
	global_store_dword v[20:21], v4, off offset:4
.LBB0_36:
	s_or_b64 exec, exec, s[0:1]
	s_movk_i32 s0, 0x3fe
	v_mul_lo_u32 v5, v5, s0
	v_sub_f32_e32 v4, v7, v15
	v_sub_f32_e32 v14, v10, v18
	v_add_f32_e32 v7, v4, v14
	v_sub_f32_e32 v10, v14, v4
	v_sub_f32_e32 v15, v19, v25
	;; [unrolled: 1-line block ×3, first 2 shown]
	v_fma_f32 v7, -v7, s16, v15
	v_fma_f32 v10, -v10, s17, v13
	s_and_saveexec_b64 s[0:1], s[12:13]
	s_cbranch_execnz .LBB0_39
; %bb.37:
	s_or_b64 exec, exec, s[0:1]
	s_and_saveexec_b64 s[0:1], s[12:13]
	s_cbranch_execnz .LBB0_40
.LBB0_38:
	s_endpgm
.LBB0_39:
	v_sub_f32_e32 v8, v8, v11
	v_add_u32_e32 v11, v0, v5
	v_sub_f32_e32 v6, v6, v12
	v_ashrrev_i32_e32 v12, 31, v11
	v_sub_f32_e32 v6, v6, v14
	v_lshlrev_b64 v[11:12], 2, v[11:12]
	v_fma_f32 v6, -v6, s11, v8
	v_add_f32_e32 v6, v6, v7
	v_mov_b32_e32 v8, s15
	v_add_co_u32_e32 v11, vcc, s14, v11
	v_add_f32_e32 v6, v6, v10
	v_addc_co_u32_e32 v12, vcc, v8, v12, vcc
	global_store_dword v[11:12], v6, off
	s_or_b64 exec, exec, s[0:1]
	s_and_saveexec_b64 s[0:1], s[12:13]
	s_cbranch_execz .LBB0_38
.LBB0_40:
	v_sub_f32_e32 v6, v9, v17
	v_sub_f32_e32 v4, v4, v6
	;; [unrolled: 1-line block ×3, first 2 shown]
	v_fma_f32 v2, -v4, s20, v2
	v_sub_f32_e32 v3, v7, v10
	v_sub_f32_e32 v2, v3, v2
	v_ashrrev_i32_e32 v3, 31, v5
	v_add_co_u32_e32 v0, vcc, v0, v5
	v_addc_co_u32_e32 v1, vcc, v1, v3, vcc
	v_lshlrev_b64 v[0:1], 2, v[0:1]
	v_mov_b32_e32 v3, s15
	v_add_co_u32_e32 v0, vcc, s14, v0
	v_addc_co_u32_e32 v1, vcc, v3, v1, vcc
	global_store_dword v[0:1], v2, off offset:4
	s_endpgm
	.section	.rodata,"a",@progbits
	.p2align	6, 0x0
	.amdhsa_kernel _Z15winograd_conv2dPKfS0_Pfii
		.amdhsa_group_segment_fixed_size 0
		.amdhsa_private_segment_fixed_size 0
		.amdhsa_kernarg_size 288
		.amdhsa_user_sgpr_count 6
		.amdhsa_user_sgpr_private_segment_buffer 1
		.amdhsa_user_sgpr_dispatch_ptr 0
		.amdhsa_user_sgpr_queue_ptr 0
		.amdhsa_user_sgpr_kernarg_segment_ptr 1
		.amdhsa_user_sgpr_dispatch_id 0
		.amdhsa_user_sgpr_flat_scratch_init 0
		.amdhsa_user_sgpr_private_segment_size 0
		.amdhsa_uses_dynamic_stack 0
		.amdhsa_system_sgpr_private_segment_wavefront_offset 0
		.amdhsa_system_sgpr_workgroup_id_x 1
		.amdhsa_system_sgpr_workgroup_id_y 1
		.amdhsa_system_sgpr_workgroup_id_z 0
		.amdhsa_system_sgpr_workgroup_info 0
		.amdhsa_system_vgpr_workitem_id 1
		.amdhsa_next_free_vgpr 30
		.amdhsa_next_free_sgpr 21
		.amdhsa_reserve_vcc 1
		.amdhsa_reserve_flat_scratch 0
		.amdhsa_float_round_mode_32 0
		.amdhsa_float_round_mode_16_64 0
		.amdhsa_float_denorm_mode_32 3
		.amdhsa_float_denorm_mode_16_64 3
		.amdhsa_dx10_clamp 1
		.amdhsa_ieee_mode 1
		.amdhsa_fp16_overflow 0
		.amdhsa_exception_fp_ieee_invalid_op 0
		.amdhsa_exception_fp_denorm_src 0
		.amdhsa_exception_fp_ieee_div_zero 0
		.amdhsa_exception_fp_ieee_overflow 0
		.amdhsa_exception_fp_ieee_underflow 0
		.amdhsa_exception_fp_ieee_inexact 0
		.amdhsa_exception_int_div_zero 0
	.end_amdhsa_kernel
	.text
.Lfunc_end0:
	.size	_Z15winograd_conv2dPKfS0_Pfii, .Lfunc_end0-_Z15winograd_conv2dPKfS0_Pfii
                                        ; -- End function
	.set _Z15winograd_conv2dPKfS0_Pfii.num_vgpr, 30
	.set _Z15winograd_conv2dPKfS0_Pfii.num_agpr, 0
	.set _Z15winograd_conv2dPKfS0_Pfii.numbered_sgpr, 21
	.set _Z15winograd_conv2dPKfS0_Pfii.num_named_barrier, 0
	.set _Z15winograd_conv2dPKfS0_Pfii.private_seg_size, 0
	.set _Z15winograd_conv2dPKfS0_Pfii.uses_vcc, 1
	.set _Z15winograd_conv2dPKfS0_Pfii.uses_flat_scratch, 0
	.set _Z15winograd_conv2dPKfS0_Pfii.has_dyn_sized_stack, 0
	.set _Z15winograd_conv2dPKfS0_Pfii.has_recursion, 0
	.set _Z15winograd_conv2dPKfS0_Pfii.has_indirect_call, 0
	.section	.AMDGPU.csdata,"",@progbits
; Kernel info:
; codeLenInByte = 1724
; TotalNumSgprs: 25
; NumVgprs: 30
; ScratchSize: 0
; MemoryBound: 0
; FloatMode: 240
; IeeeMode: 1
; LDSByteSize: 0 bytes/workgroup (compile time only)
; SGPRBlocks: 3
; VGPRBlocks: 7
; NumSGPRsForWavesPerEU: 25
; NumVGPRsForWavesPerEU: 30
; Occupancy: 8
; WaveLimiterHint : 0
; COMPUTE_PGM_RSRC2:SCRATCH_EN: 0
; COMPUTE_PGM_RSRC2:USER_SGPR: 6
; COMPUTE_PGM_RSRC2:TRAP_HANDLER: 0
; COMPUTE_PGM_RSRC2:TGID_X_EN: 1
; COMPUTE_PGM_RSRC2:TGID_Y_EN: 1
; COMPUTE_PGM_RSRC2:TGID_Z_EN: 0
; COMPUTE_PGM_RSRC2:TIDIG_COMP_CNT: 1
	.section	.AMDGPU.gpr_maximums,"",@progbits
	.set amdgpu.max_num_vgpr, 0
	.set amdgpu.max_num_agpr, 0
	.set amdgpu.max_num_sgpr, 0
	.section	.AMDGPU.csdata,"",@progbits
	.type	__hip_cuid_dad4f34fb342dbf9,@object ; @__hip_cuid_dad4f34fb342dbf9
	.section	.bss,"aw",@nobits
	.globl	__hip_cuid_dad4f34fb342dbf9
__hip_cuid_dad4f34fb342dbf9:
	.byte	0                               ; 0x0
	.size	__hip_cuid_dad4f34fb342dbf9, 1

	.ident	"AMD clang version 22.0.0git (https://github.com/RadeonOpenCompute/llvm-project roc-7.2.4 26084 f58b06dce1f9c15707c5f808fd002e18c2accf7e)"
	.section	".note.GNU-stack","",@progbits
	.addrsig
	.addrsig_sym __hip_cuid_dad4f34fb342dbf9
	.amdgpu_metadata
---
amdhsa.kernels:
  - .args:
      - .actual_access:  read_only
        .address_space:  global
        .offset:         0
        .size:           8
        .value_kind:     global_buffer
      - .actual_access:  read_only
        .address_space:  global
        .offset:         8
        .size:           8
        .value_kind:     global_buffer
      - .actual_access:  write_only
        .address_space:  global
        .offset:         16
        .size:           8
        .value_kind:     global_buffer
      - .offset:         24
        .size:           4
        .value_kind:     by_value
      - .offset:         28
        .size:           4
        .value_kind:     by_value
      - .offset:         32
        .size:           4
        .value_kind:     hidden_block_count_x
      - .offset:         36
        .size:           4
        .value_kind:     hidden_block_count_y
      - .offset:         40
        .size:           4
        .value_kind:     hidden_block_count_z
      - .offset:         44
        .size:           2
        .value_kind:     hidden_group_size_x
      - .offset:         46
        .size:           2
        .value_kind:     hidden_group_size_y
      - .offset:         48
        .size:           2
        .value_kind:     hidden_group_size_z
      - .offset:         50
        .size:           2
        .value_kind:     hidden_remainder_x
      - .offset:         52
        .size:           2
        .value_kind:     hidden_remainder_y
      - .offset:         54
        .size:           2
        .value_kind:     hidden_remainder_z
      - .offset:         72
        .size:           8
        .value_kind:     hidden_global_offset_x
      - .offset:         80
        .size:           8
        .value_kind:     hidden_global_offset_y
      - .offset:         88
        .size:           8
        .value_kind:     hidden_global_offset_z
      - .offset:         96
        .size:           2
        .value_kind:     hidden_grid_dims
    .group_segment_fixed_size: 0
    .kernarg_segment_align: 8
    .kernarg_segment_size: 288
    .language:       OpenCL C
    .language_version:
      - 2
      - 0
    .max_flat_workgroup_size: 1024
    .name:           _Z15winograd_conv2dPKfS0_Pfii
    .private_segment_fixed_size: 0
    .sgpr_count:     25
    .sgpr_spill_count: 0
    .symbol:         _Z15winograd_conv2dPKfS0_Pfii.kd
    .uniform_work_group_size: 1
    .uses_dynamic_stack: false
    .vgpr_count:     30
    .vgpr_spill_count: 0
    .wavefront_size: 64
amdhsa.target:   amdgcn-amd-amdhsa--gfx906
amdhsa.version:
  - 1
  - 2
...

	.end_amdgpu_metadata
